;; amdgpu-corpus repo=ROCm/rocFFT kind=compiled arch=gfx1201 opt=O3
	.text
	.amdgcn_target "amdgcn-amd-amdhsa--gfx1201"
	.amdhsa_code_object_version 6
	.protected	fft_rtc_fwd_len81_factors_3_3_3_3_wgs_243_tpt_27_sp_op_CI_CI_sbrc_xy_z_diag ; -- Begin function fft_rtc_fwd_len81_factors_3_3_3_3_wgs_243_tpt_27_sp_op_CI_CI_sbrc_xy_z_diag
	.globl	fft_rtc_fwd_len81_factors_3_3_3_3_wgs_243_tpt_27_sp_op_CI_CI_sbrc_xy_z_diag
	.p2align	8
	.type	fft_rtc_fwd_len81_factors_3_3_3_3_wgs_243_tpt_27_sp_op_CI_CI_sbrc_xy_z_diag,@function
fft_rtc_fwd_len81_factors_3_3_3_3_wgs_243_tpt_27_sp_op_CI_CI_sbrc_xy_z_diag: ; @fft_rtc_fwd_len81_factors_3_3_3_3_wgs_243_tpt_27_sp_op_CI_CI_sbrc_xy_z_diag
; %bb.0:
	s_load_b256 s[4:11], s[0:1], 0x0
	v_mul_u32_u24_e32 v2, 0x32a, v0
	s_delay_alu instid0(VALU_DEP_1)
	v_lshrrev_b32_e32 v9, 16, v2
	s_wait_kmcnt 0x0
	s_load_b128 s[12:15], s[8:9], 0x8
	s_load_b128 s[16:19], s[10:11], 0x0
	s_wait_kmcnt 0x0
	s_load_b32 s19, s[10:11], 0x10
	s_mov_b32 s9, 0
	s_add_co_i32 s2, s14, -1
	s_delay_alu instid0(SALU_CYCLE_1) | instskip(NEXT) | instid1(SALU_CYCLE_1)
	s_mul_hi_u32 s2, s2, 0x38e38e39
	s_lshr_b32 s2, s2, 1
	s_delay_alu instid0(SALU_CYCLE_1) | instskip(NEXT) | instid1(SALU_CYCLE_1)
	s_add_co_i32 s2, s2, 1
	s_mul_i32 s2, s2, s12
	s_clause 0x1
	s_load_b128 s[12:15], s[0:1], 0x58
	s_load_b64 s[20:21], s[0:1], 0x20
	s_cvt_f32_u32 s3, s2
	s_sub_co_i32 s8, 0, s2
	s_delay_alu instid0(SALU_CYCLE_2) | instskip(NEXT) | instid1(TRANS32_DEP_1)
	v_rcp_iflag_f32_e32 v1, s3
	v_readfirstlane_b32 s3, v1
	v_mul_lo_u16 v1, 0x51, v9
	s_delay_alu instid0(VALU_DEP_2) | instskip(NEXT) | instid1(VALU_DEP_1)
	s_mul_f32 s3, s3, 0x4f7ffffe
	v_sub_nc_u16 v1, v0, v1
	s_wait_alu 0xfffe
	s_delay_alu instid0(SALU_CYCLE_1) | instskip(NEXT) | instid1(VALU_DEP_1)
	s_cvt_u32_f32 s3, s3
	v_and_b32_e32 v10, 0xffff, v1
	s_wait_kmcnt 0x0
	v_mul_lo_u32 v1, s19, v9
	s_wait_alu 0xfffe
	s_mul_i32 s8, s8, s3
	v_mul_u32_u24_e32 v9, 0x288, v9
	s_mul_hi_u32 s8, s3, s8
	v_mad_co_u64_u32 v[3:4], null, s16, v10, 0
	s_add_co_i32 s3, s3, s8
	s_wait_alu 0xfffe
	s_mul_hi_u32 s3, ttmp9, s3
	s_wait_alu 0xfffe
	s_mul_i32 s8, s3, s2
	s_add_co_i32 s16, s3, 1
	s_sub_co_i32 s8, ttmp9, s8
	v_mad_co_u64_u32 v[4:5], null, s17, v10, v[4:5]
	s_sub_co_i32 s22, s8, s2
	s_cmp_ge_u32 s8, s2
	s_mov_b32 s17, s9
	s_wait_alu 0xfffe
	s_cselect_b32 s0, s16, s3
	s_cselect_b32 s1, s22, s8
	s_add_co_i32 s3, s0, 1
	s_cmp_ge_u32 s1, s2
	v_lshlrev_b64_e32 v[3:4], 3, v[3:4]
	s_wait_alu 0xfffe
	s_cselect_b32 s16, s3, s0
	s_lshl_b64 s[22:23], s[6:7], 3
	s_wait_alu 0xfffe
	s_mul_i32 s0, s16, s2
	s_mul_i32 s7, s19, 3
	s_sub_co_i32 s2, ttmp9, s0
	s_add_nc_u64 s[0:1], s[10:11], s[22:23]
	s_wait_alu 0xfffe
	s_mul_hi_u32 s3, s2, 0x2f684bdb
	s_load_b64 s[0:1], s[0:1], 0x0
	s_sub_co_i32 s6, s2, s3
	v_mov_b32_e32 v2, 0
	s_lshr_b32 s6, s6, 1
	v_lshlrev_b32_e32 v10, 3, v10
	s_add_co_i32 s6, s6, s3
	s_add_nc_u64 s[10:11], s[20:21], s[22:23]
	s_lshr_b32 s3, s6, 4
	v_lshlrev_b64_e32 v[5:6], 3, v[1:2]
	s_wait_alu 0xfffe
	s_mul_i32 s6, s3, 27
	v_add_nc_u32_e32 v1, s7, v1
	s_sub_co_i32 s2, s2, s6
	v_add3_u32 v9, 0, v9, v10
	s_wait_alu 0xfffe
	s_add_co_i32 s3, s3, s2
	s_wait_alu 0xfffe
	s_mul_hi_u32 s6, s3, 0xca4587e7
	v_lshlrev_b64_e32 v[7:8], 3, v[1:2]
	s_wait_alu 0xfffe
	s_lshr_b32 s8, s6, 6
	s_mul_i32 s6, s2, 9
	s_mulk_i32 s8, 0x51
	s_wait_alu 0xfffe
	s_mul_i32 s2, s6, s19
	s_sub_co_i32 s19, s3, s8
	s_wait_kmcnt 0x0
	s_mul_u64 s[0:1], s[0:1], s[16:17]
	s_wait_alu 0xfffe
	s_mul_i32 s3, s19, s18
	s_lshl_b64 s[0:1], s[0:1], 3
	s_wait_alu 0xfffe
	s_add_co_i32 s8, s3, s2
	s_add_nc_u64 s[0:1], s[12:13], s[0:1]
	s_lshl_b64 s[2:3], s[8:9], 3
	v_add_nc_u32_e32 v1, s7, v1
	s_wait_alu 0xfffe
	s_add_nc_u64 s[0:1], s[0:1], s[2:3]
	s_mov_b32 s7, s9
	v_add_co_u32 v11, vcc_lo, s0, v3
	v_add_co_ci_u32_e32 v12, vcc_lo, s1, v4, vcc_lo
	v_lshlrev_b64_e32 v[3:4], 3, v[1:2]
	s_delay_alu instid0(VALU_DEP_3) | instskip(SKIP_1) | instid1(VALU_DEP_3)
	v_add_co_u32 v5, vcc_lo, v11, v5
	s_wait_alu 0xfffd
	v_add_co_ci_u32_e32 v6, vcc_lo, v12, v6, vcc_lo
	v_add_co_u32 v7, vcc_lo, v11, v7
	s_wait_alu 0xfffd
	v_add_co_ci_u32_e32 v8, vcc_lo, v12, v8, vcc_lo
	;; [unrolled: 3-line block ×3, first 2 shown]
	s_clause 0x2
	global_load_b64 v[5:6], v[5:6], off
	global_load_b64 v[7:8], v[7:8], off
	;; [unrolled: 1-line block ×3, first 2 shown]
	v_mul_u32_u24_e32 v1, 0x97c, v0
	s_clause 0x1
	s_load_b128 s[0:3], s[20:21], 0x0
	s_load_b64 s[10:11], s[10:11], 0x0
	s_wait_kmcnt 0x0
	s_load_b32 s3, s[20:21], 0x10
	s_wait_loadcnt 0x1
	ds_store_2addr_b64 v9, v[5:6], v[7:8] offset1:243
	s_wait_loadcnt 0x0
	ds_store_b64 v9, v[3:4] offset:3888
	v_lshrrev_b32_e32 v1, 16, v1
	global_wb scope:SCOPE_SE
	s_wait_dscnt 0x0
	s_wait_kmcnt 0x0
	s_barrier_signal -1
	s_barrier_wait -1
	global_inv scope:SCOPE_SE
	v_add_nc_u16 v11, v1, s6
	v_mul_lo_u16 v1, v1, 27
	s_delay_alu instid0(VALU_DEP_2) | instskip(NEXT) | instid1(VALU_DEP_2)
	v_and_b32_e32 v12, 0xffff, v11
	v_sub_nc_u16 v1, v0, v1
	s_delay_alu instid0(VALU_DEP_2) | instskip(NEXT) | instid1(VALU_DEP_1)
	v_mul_u32_u24_e32 v12, 0xe38f, v12
	v_lshrrev_b32_e32 v12, 19, v12
	s_delay_alu instid0(VALU_DEP_1) | instskip(NEXT) | instid1(VALU_DEP_1)
	v_mul_lo_u16 v12, v12, 9
	v_sub_nc_u16 v11, v11, v12
	v_and_b32_e32 v12, 0xffff, v1
	s_delay_alu instid0(VALU_DEP_2) | instskip(NEXT) | instid1(VALU_DEP_2)
	v_mul_lo_u16 v11, 0x51, v11
	v_lshlrev_b32_e32 v15, 3, v12
	s_delay_alu instid0(VALU_DEP_2) | instskip(NEXT) | instid1(VALU_DEP_1)
	v_and_b32_e32 v11, 0xffff, v11
	v_lshlrev_b32_e32 v16, 3, v11
	s_delay_alu instid0(VALU_DEP_1)
	v_add3_u32 v19, 0, v15, v16
	v_add3_u32 v17, 0, v16, v15
	ds_load_2addr_b64 v[3:6], v19 offset0:27 offset1:54
	ds_load_b64 v[7:8], v17
	v_and_b32_e32 v13, 0xff, v1
	global_wb scope:SCOPE_SE
	s_wait_dscnt 0x0
	s_barrier_signal -1
	s_barrier_wait -1
	global_inv scope:SCOPE_SE
	v_add_f32_e32 v20, v4, v6
	v_sub_f32_e32 v21, v4, v6
	v_add_f32_e32 v4, v8, v4
	v_dual_add_f32 v12, v3, v5 :: v_dual_lshlrev_b32 v15, 4, v12
	v_add_f32_e32 v18, v7, v3
	v_fmac_f32_e32 v8, -0.5, v20
	v_mul_lo_u16 v14, 0xab, v13
	v_add_f32_e32 v4, v4, v6
	v_fma_f32 v7, -0.5, v12, v7
	v_sub_f32_e32 v12, v3, v5
	v_add_f32_e32 v3, v18, v5
	v_lshrrev_b16 v11, 9, v14
	s_delay_alu instid0(VALU_DEP_4) | instskip(NEXT) | instid1(VALU_DEP_4)
	v_dual_fmamk_f32 v5, v21, 0x3f5db3d7, v7 :: v_dual_add_nc_u32 v10, v19, v15
	v_fmamk_f32 v6, v12, 0xbf5db3d7, v8
	v_fmac_f32_e32 v8, 0x3f5db3d7, v12
	v_mul_lo_u16 v12, v13, 57
	v_mul_lo_u16 v9, v11, 3
	v_fmac_f32_e32 v7, 0xbf5db3d7, v21
	v_and_b32_e32 v20, 0xffff, v11
	s_delay_alu instid0(VALU_DEP_4) | instskip(NEXT) | instid1(VALU_DEP_4)
	v_lshrrev_b16 v13, 9, v12
	v_sub_nc_u16 v9, v1, v9
	s_delay_alu instid0(VALU_DEP_2) | instskip(SKIP_1) | instid1(VALU_DEP_2)
	v_mul_lo_u16 v18, v13, 9
	v_and_b32_e32 v13, 0xffff, v13
	v_sub_nc_u16 v1, v1, v18
	v_mad_u32_u24 v18, 0x48, v20, 0
	s_delay_alu instid0(VALU_DEP_3) | instskip(NEXT) | instid1(VALU_DEP_3)
	v_mad_u32_u24 v13, 0xd8, v13, 0
	v_and_b32_e32 v1, 0xff, v1
	s_delay_alu instid0(VALU_DEP_1)
	v_lshlrev_b32_e32 v22, 4, v1
	v_lshlrev_b32_e32 v1, 3, v1
	ds_store_2addr_b64 v10, v[3:4], v[5:6] offset1:1
	ds_store_b64 v10, v[7:8] offset:16
	global_wb scope:SCOPE_SE
	s_wait_dscnt 0x0
	s_barrier_signal -1
	s_barrier_wait -1
	global_inv scope:SCOPE_SE
	ds_load_b64 v[11:12], v17
	v_and_b32_e32 v14, 0xff, v9
	v_add3_u32 v1, v13, v1, v16
	s_delay_alu instid0(VALU_DEP_2)
	v_lshlrev_b32_e32 v9, 4, v14
	global_load_b128 v[3:6], v9, s[4:5]
	ds_load_2addr_b64 v[7:10], v19 offset0:27 offset1:54
	global_wb scope:SCOPE_SE
	s_wait_loadcnt_dscnt 0x0
	s_barrier_signal -1
	s_barrier_wait -1
	global_inv scope:SCOPE_SE
	v_dual_mul_f32 v20, v4, v8 :: v_dual_mul_f32 v21, v6, v10
	v_mul_f32_e32 v8, v3, v8
	v_mul_f32_e32 v6, v6, v9
	s_delay_alu instid0(VALU_DEP_3) | instskip(NEXT) | instid1(VALU_DEP_4)
	v_fma_f32 v3, v3, v7, -v20
	v_fma_f32 v9, v5, v9, -v21
	s_delay_alu instid0(VALU_DEP_4) | instskip(NEXT) | instid1(VALU_DEP_3)
	v_fmac_f32_e32 v8, v4, v7
	v_dual_fmac_f32 v6, v5, v10 :: v_dual_add_f32 v5, v3, v11
	v_lshlrev_b32_e32 v14, 3, v14
	s_delay_alu instid0(VALU_DEP_4) | instskip(NEXT) | instid1(VALU_DEP_3)
	v_add_f32_e32 v4, v3, v9
	v_add_f32_e32 v10, v8, v6
	s_delay_alu instid0(VALU_DEP_3)
	v_add3_u32 v7, v18, v14, v16
	v_sub_f32_e32 v14, v8, v6
	v_add_f32_e32 v8, v8, v12
	v_fma_f32 v11, -0.5, v4, v11
	v_sub_f32_e32 v18, v3, v9
	v_dual_fmac_f32 v12, -0.5, v10 :: v_dual_add_f32 v3, v5, v9
	s_delay_alu instid0(VALU_DEP_3) | instskip(NEXT) | instid1(VALU_DEP_2)
	v_dual_add_f32 v4, v8, v6 :: v_dual_fmamk_f32 v5, v14, 0x3f5db3d7, v11
	v_dual_fmac_f32 v11, 0xbf5db3d7, v14 :: v_dual_fmamk_f32 v6, v18, 0xbf5db3d7, v12
	v_fmac_f32_e32 v12, 0x3f5db3d7, v18
	ds_store_2addr_b64 v7, v[3:4], v[5:6] offset1:3
	ds_store_b64 v7, v[11:12] offset:48
	global_wb scope:SCOPE_SE
	s_wait_dscnt 0x0
	s_barrier_signal -1
	s_barrier_wait -1
	global_inv scope:SCOPE_SE
	global_load_b128 v[3:6], v22, s[4:5] offset:48
	ds_load_2addr_b64 v[7:10], v19 offset0:27 offset1:54
	ds_load_b64 v[11:12], v17
	global_wb scope:SCOPE_SE
	s_wait_loadcnt_dscnt 0x0
	s_barrier_signal -1
	s_barrier_wait -1
	global_inv scope:SCOPE_SE
	v_mul_f32_e32 v14, v4, v8
	v_mul_f32_e32 v18, v6, v10
	;; [unrolled: 1-line block ×4, first 2 shown]
	s_delay_alu instid0(VALU_DEP_4) | instskip(NEXT) | instid1(VALU_DEP_4)
	v_fma_f32 v3, v3, v7, -v14
	v_fma_f32 v9, v5, v9, -v18
	s_delay_alu instid0(VALU_DEP_4) | instskip(NEXT) | instid1(VALU_DEP_3)
	v_fmac_f32_e32 v8, v4, v7
	v_dual_fmac_f32 v6, v5, v10 :: v_dual_add_f32 v5, v3, v11
	s_delay_alu instid0(VALU_DEP_3) | instskip(SKIP_1) | instid1(VALU_DEP_3)
	v_add_f32_e32 v4, v3, v9
	v_sub_f32_e32 v13, v3, v9
	v_add_f32_e32 v7, v8, v6
	v_sub_f32_e32 v10, v8, v6
	v_add_f32_e32 v8, v8, v12
	v_fma_f32 v11, -0.5, v4, v11
	s_delay_alu instid0(VALU_DEP_4) | instskip(NEXT) | instid1(VALU_DEP_2)
	v_dual_add_f32 v3, v5, v9 :: v_dual_fmac_f32 v12, -0.5, v7
	v_dual_add_f32 v4, v8, v6 :: v_dual_fmamk_f32 v5, v10, 0x3f5db3d7, v11
	s_delay_alu instid0(VALU_DEP_2)
	v_dual_fmac_f32 v11, 0xbf5db3d7, v10 :: v_dual_fmamk_f32 v6, v13, 0xbf5db3d7, v12
	v_fmac_f32_e32 v12, 0x3f5db3d7, v13
	ds_store_2addr_b64 v1, v[3:4], v[5:6] offset1:9
	ds_store_b64 v1, v[11:12] offset:144
	global_wb scope:SCOPE_SE
	s_wait_dscnt 0x0
	s_barrier_signal -1
	s_barrier_wait -1
	global_inv scope:SCOPE_SE
	global_load_b128 v[3:6], v15, s[4:5] offset:192
	v_mul_u32_u24_e32 v1, 0x1c72, v0
	ds_load_b64 v[17:18], v17
	s_mov_b32 s5, s9
	s_mul_u64 s[8:9], s[10:11], s[16:17]
	s_mul_i32 s4, s19, s3
	v_lshrrev_b32_e32 v7, 16, v1
	s_delay_alu instid0(VALU_DEP_1) | instskip(SKIP_1) | instid1(VALU_DEP_2)
	v_mul_lo_u16 v1, v7, 9
	v_lshlrev_b32_e32 v15, 3, v7
	v_sub_nc_u16 v0, v0, v1
	s_delay_alu instid0(VALU_DEP_1) | instskip(SKIP_1) | instid1(VALU_DEP_2)
	v_and_b32_e32 v1, 0xffff, v0
	v_mul_lo_u16 v8, 0x51, v0
	v_mad_co_u64_u32 v[11:12], null, s0, v1, 0
	s_delay_alu instid0(VALU_DEP_1) | instskip(NEXT) | instid1(VALU_DEP_3)
	v_mov_b32_e32 v0, v12
	v_and_b32_e32 v12, 0xffff, v8
	s_delay_alu instid0(VALU_DEP_2)
	v_mad_co_u64_u32 v[0:1], null, s1, v1, v[0:1]
	v_mul_lo_u32 v1, s2, v7
	ds_load_2addr_b64 v[7:10], v19 offset0:27 offset1:54
	v_lshlrev_b32_e32 v16, 3, v12
	s_mul_i32 s2, s2, 27
	s_mul_u64 s[0:1], s[0:1], s[6:7]
	s_lshl_b64 s[6:7], s[8:9], 3
	v_mov_b32_e32 v12, v0
	v_add3_u32 v0, 0, v16, v15
	v_lshlrev_b64_e32 v[13:14], 3, v[1:2]
	s_wait_alu 0xfffe
	v_add_nc_u32_e32 v1, s2, v1
	v_add3_u32 v20, 0, v15, v16
	v_lshlrev_b64_e32 v[11:12], 3, v[11:12]
	s_lshl_b64 s[0:1], s[0:1], 3
	s_add_nc_u64 s[6:7], s[14:15], s[6:7]
	v_lshlrev_b64_e32 v[15:16], 3, v[1:2]
	v_add_nc_u32_e32 v1, s2, v1
	s_wait_alu 0xfffe
	s_add_nc_u64 s[0:1], s[6:7], s[0:1]
	s_lshl_b64 s[2:3], s[4:5], 3
	global_wb scope:SCOPE_SE
	s_wait_loadcnt_dscnt 0x0
	s_barrier_signal -1
	s_barrier_wait -1
	global_inv scope:SCOPE_SE
	s_wait_alu 0xfffe
	s_add_nc_u64 s[0:1], s[0:1], s[2:3]
	v_dual_mul_f32 v21, v4, v8 :: v_dual_mul_f32 v22, v6, v10
	v_mul_f32_e32 v8, v3, v8
	v_mul_f32_e32 v6, v6, v9
	s_delay_alu instid0(VALU_DEP_3) | instskip(NEXT) | instid1(VALU_DEP_4)
	v_fma_f32 v3, v3, v7, -v21
	v_fma_f32 v9, v5, v9, -v22
	s_delay_alu instid0(VALU_DEP_4) | instskip(NEXT) | instid1(VALU_DEP_3)
	v_fmac_f32_e32 v8, v4, v7
	v_dual_fmac_f32 v6, v5, v10 :: v_dual_add_f32 v5, v3, v17
	s_delay_alu instid0(VALU_DEP_3) | instskip(SKIP_1) | instid1(VALU_DEP_3)
	v_add_f32_e32 v4, v3, v9
	v_sub_f32_e32 v21, v3, v9
	v_add_f32_e32 v7, v8, v6
	v_sub_f32_e32 v10, v8, v6
	v_add_f32_e32 v8, v8, v18
	v_fma_f32 v17, -0.5, v4, v17
	s_delay_alu instid0(VALU_DEP_4) | instskip(NEXT) | instid1(VALU_DEP_2)
	v_dual_add_f32 v3, v5, v9 :: v_dual_fmac_f32 v18, -0.5, v7
	v_dual_add_f32 v4, v8, v6 :: v_dual_fmamk_f32 v5, v10, 0x3f5db3d7, v17
	s_delay_alu instid0(VALU_DEP_2)
	v_dual_fmac_f32 v17, 0xbf5db3d7, v10 :: v_dual_fmamk_f32 v6, v21, 0xbf5db3d7, v18
	v_fmac_f32_e32 v18, 0x3f5db3d7, v21
	ds_store_2addr_b64 v19, v[3:4], v[5:6] offset1:27
	ds_store_b64 v19, v[17:18] offset:432
	global_wb scope:SCOPE_SE
	s_wait_dscnt 0x0
	s_barrier_signal -1
	s_barrier_wait -1
	global_inv scope:SCOPE_SE
	ds_load_b64 v[7:8], v0
	ds_load_2addr_b64 v[3:6], v20 offset0:27 offset1:54
	s_wait_alu 0xfffe
	v_add_co_u32 v17, vcc_lo, s0, v11
	s_wait_alu 0xfffd
	v_add_co_ci_u32_e32 v18, vcc_lo, s1, v12, vcc_lo
	v_lshlrev_b64_e32 v[0:1], 3, v[1:2]
	s_delay_alu instid0(VALU_DEP_3) | instskip(SKIP_1) | instid1(VALU_DEP_3)
	v_add_co_u32 v9, vcc_lo, v17, v13
	s_wait_alu 0xfffd
	v_add_co_ci_u32_e32 v10, vcc_lo, v18, v14, vcc_lo
	v_add_co_u32 v11, vcc_lo, v17, v15
	s_wait_alu 0xfffd
	v_add_co_ci_u32_e32 v12, vcc_lo, v18, v16, vcc_lo
	;; [unrolled: 3-line block ×3, first 2 shown]
	s_wait_dscnt 0x1
	global_store_b64 v[9:10], v[7:8], off
	s_wait_dscnt 0x0
	s_clause 0x1
	global_store_b64 v[11:12], v[3:4], off
	global_store_b64 v[0:1], v[5:6], off
	s_nop 0
	s_sendmsg sendmsg(MSG_DEALLOC_VGPRS)
	s_endpgm
	.section	.rodata,"a",@progbits
	.p2align	6, 0x0
	.amdhsa_kernel fft_rtc_fwd_len81_factors_3_3_3_3_wgs_243_tpt_27_sp_op_CI_CI_sbrc_xy_z_diag
		.amdhsa_group_segment_fixed_size 0
		.amdhsa_private_segment_fixed_size 0
		.amdhsa_kernarg_size 104
		.amdhsa_user_sgpr_count 2
		.amdhsa_user_sgpr_dispatch_ptr 0
		.amdhsa_user_sgpr_queue_ptr 0
		.amdhsa_user_sgpr_kernarg_segment_ptr 1
		.amdhsa_user_sgpr_dispatch_id 0
		.amdhsa_user_sgpr_private_segment_size 0
		.amdhsa_wavefront_size32 1
		.amdhsa_uses_dynamic_stack 0
		.amdhsa_enable_private_segment 0
		.amdhsa_system_sgpr_workgroup_id_x 1
		.amdhsa_system_sgpr_workgroup_id_y 0
		.amdhsa_system_sgpr_workgroup_id_z 0
		.amdhsa_system_sgpr_workgroup_info 0
		.amdhsa_system_vgpr_workitem_id 0
		.amdhsa_next_free_vgpr 23
		.amdhsa_next_free_sgpr 24
		.amdhsa_reserve_vcc 1
		.amdhsa_float_round_mode_32 0
		.amdhsa_float_round_mode_16_64 0
		.amdhsa_float_denorm_mode_32 3
		.amdhsa_float_denorm_mode_16_64 3
		.amdhsa_fp16_overflow 0
		.amdhsa_workgroup_processor_mode 1
		.amdhsa_memory_ordered 1
		.amdhsa_forward_progress 0
		.amdhsa_round_robin_scheduling 0
		.amdhsa_exception_fp_ieee_invalid_op 0
		.amdhsa_exception_fp_denorm_src 0
		.amdhsa_exception_fp_ieee_div_zero 0
		.amdhsa_exception_fp_ieee_overflow 0
		.amdhsa_exception_fp_ieee_underflow 0
		.amdhsa_exception_fp_ieee_inexact 0
		.amdhsa_exception_int_div_zero 0
	.end_amdhsa_kernel
	.text
.Lfunc_end0:
	.size	fft_rtc_fwd_len81_factors_3_3_3_3_wgs_243_tpt_27_sp_op_CI_CI_sbrc_xy_z_diag, .Lfunc_end0-fft_rtc_fwd_len81_factors_3_3_3_3_wgs_243_tpt_27_sp_op_CI_CI_sbrc_xy_z_diag
                                        ; -- End function
	.section	.AMDGPU.csdata,"",@progbits
; Kernel info:
; codeLenInByte = 2336
; NumSgprs: 26
; NumVgprs: 23
; ScratchSize: 0
; MemoryBound: 0
; FloatMode: 240
; IeeeMode: 1
; LDSByteSize: 0 bytes/workgroup (compile time only)
; SGPRBlocks: 3
; VGPRBlocks: 2
; NumSGPRsForWavesPerEU: 26
; NumVGPRsForWavesPerEU: 23
; Occupancy: 16
; WaveLimiterHint : 1
; COMPUTE_PGM_RSRC2:SCRATCH_EN: 0
; COMPUTE_PGM_RSRC2:USER_SGPR: 2
; COMPUTE_PGM_RSRC2:TRAP_HANDLER: 0
; COMPUTE_PGM_RSRC2:TGID_X_EN: 1
; COMPUTE_PGM_RSRC2:TGID_Y_EN: 0
; COMPUTE_PGM_RSRC2:TGID_Z_EN: 0
; COMPUTE_PGM_RSRC2:TIDIG_COMP_CNT: 0
	.text
	.p2alignl 7, 3214868480
	.fill 96, 4, 3214868480
	.type	__hip_cuid_ca6f2fb94552f299,@object ; @__hip_cuid_ca6f2fb94552f299
	.section	.bss,"aw",@nobits
	.globl	__hip_cuid_ca6f2fb94552f299
__hip_cuid_ca6f2fb94552f299:
	.byte	0                               ; 0x0
	.size	__hip_cuid_ca6f2fb94552f299, 1

	.ident	"AMD clang version 19.0.0git (https://github.com/RadeonOpenCompute/llvm-project roc-6.4.0 25133 c7fe45cf4b819c5991fe208aaa96edf142730f1d)"
	.section	".note.GNU-stack","",@progbits
	.addrsig
	.addrsig_sym __hip_cuid_ca6f2fb94552f299
	.amdgpu_metadata
---
amdhsa.kernels:
  - .args:
      - .actual_access:  read_only
        .address_space:  global
        .offset:         0
        .size:           8
        .value_kind:     global_buffer
      - .offset:         8
        .size:           8
        .value_kind:     by_value
      - .actual_access:  read_only
        .address_space:  global
        .offset:         16
        .size:           8
        .value_kind:     global_buffer
      - .actual_access:  read_only
        .address_space:  global
        .offset:         24
        .size:           8
        .value_kind:     global_buffer
      - .actual_access:  read_only
        .address_space:  global
        .offset:         32
        .size:           8
        .value_kind:     global_buffer
      - .offset:         40
        .size:           8
        .value_kind:     by_value
      - .actual_access:  read_only
        .address_space:  global
        .offset:         48
        .size:           8
        .value_kind:     global_buffer
      - .actual_access:  read_only
        .address_space:  global
        .offset:         56
        .size:           8
        .value_kind:     global_buffer
      - .offset:         64
        .size:           4
        .value_kind:     by_value
      - .actual_access:  read_only
        .address_space:  global
        .offset:         72
        .size:           8
        .value_kind:     global_buffer
      - .actual_access:  read_only
        .address_space:  global
        .offset:         80
        .size:           8
        .value_kind:     global_buffer
      - .actual_access:  read_only
        .address_space:  global
        .offset:         88
        .size:           8
        .value_kind:     global_buffer
      - .actual_access:  write_only
        .address_space:  global
        .offset:         96
        .size:           8
        .value_kind:     global_buffer
    .group_segment_fixed_size: 0
    .kernarg_segment_align: 8
    .kernarg_segment_size: 104
    .language:       OpenCL C
    .language_version:
      - 2
      - 0
    .max_flat_workgroup_size: 243
    .name:           fft_rtc_fwd_len81_factors_3_3_3_3_wgs_243_tpt_27_sp_op_CI_CI_sbrc_xy_z_diag
    .private_segment_fixed_size: 0
    .sgpr_count:     26
    .sgpr_spill_count: 0
    .symbol:         fft_rtc_fwd_len81_factors_3_3_3_3_wgs_243_tpt_27_sp_op_CI_CI_sbrc_xy_z_diag.kd
    .uniform_work_group_size: 1
    .uses_dynamic_stack: false
    .vgpr_count:     23
    .vgpr_spill_count: 0
    .wavefront_size: 32
    .workgroup_processor_mode: 1
amdhsa.target:   amdgcn-amd-amdhsa--gfx1201
amdhsa.version:
  - 1
  - 2
...

	.end_amdgpu_metadata
